;; amdgpu-corpus repo=zjin-lcf/HeCBench kind=compiled arch=gfx906 opt=O3
	.amdgcn_target "amdgcn-amd-amdhsa--gfx906"
	.amdhsa_code_object_version 6
	.section	.text._ZL14timedReductionPKfPfPl,"axG",@progbits,_ZL14timedReductionPKfPfPl,comdat
	.globl	_ZL14timedReductionPKfPfPl      ; -- Begin function _ZL14timedReductionPKfPfPl
	.p2align	8
	.type	_ZL14timedReductionPKfPfPl,@function
_ZL14timedReductionPKfPfPl:             ; @_ZL14timedReductionPKfPfPl
; %bb.0:
	s_load_dwordx4 s[8:11], s[4:5], 0x0
	s_load_dwordx2 s[2:3], s[4:5], 0x10
	v_cmp_eq_u32_e32 vcc, 0, v0
	s_and_saveexec_b64 s[0:1], vcc
	s_cbranch_execz .LBB0_2
; %bb.1:
	s_memtime s[12:13]
	s_ashr_i32 s7, s6, 31
	s_lshl_b64 s[14:15], s[6:7], 3
	s_waitcnt lgkmcnt(0)
	s_add_u32 s14, s2, s14
	s_addc_u32 s15, s3, s15
	v_mov_b32_e32 v1, s12
	v_mov_b32_e32 v3, 0
	;; [unrolled: 1-line block ×3, first 2 shown]
	global_store_dwordx2 v3, v[1:2], s[14:15]
.LBB0_2:
	s_or_b64 exec, exec, s[0:1]
	s_load_dword s7, s[4:5], 0x24
	v_lshlrev_b32_e32 v3, 2, v0
	s_waitcnt lgkmcnt(0)
	v_mov_b32_e32 v1, s9
	v_add_co_u32_e64 v2, s[0:1], s8, v3
	global_load_dword v5, v3, s[8:9]
	s_load_dword s8, s[4:5], 0x18
	s_and_b32 s7, s7, 0xffff
	v_addc_co_u32_e64 v4, s[0:1], 0, v1, s[0:1]
	s_lshl_b32 s9, s7, 2
	v_add_co_u32_e64 v1, s[0:1], s9, v2
	v_addc_co_u32_e64 v2, s[0:1], 0, v4, s[0:1]
	global_load_dword v2, v[1:2], off
	v_add_u32_e32 v1, 0, v3
	s_cmp_eq_u32 s7, 0
	v_add_u32_e32 v3, s9, v1
	s_waitcnt vmcnt(1)
	ds_write_b32 v1, v5
	s_waitcnt vmcnt(0)
	ds_write_b32 v3, v2
	s_cbranch_scc0 .LBB0_9
.LBB0_3:
	s_and_saveexec_b64 s[0:1], vcc
	s_cbranch_execz .LBB0_5
; %bb.4:
	v_mov_b32_e32 v0, 0
	ds_read_b32 v1, v0
	s_ashr_i32 s7, s6, 31
	s_lshl_b64 s[4:5], s[6:7], 2
	s_add_u32 s4, s10, s4
	s_addc_u32 s5, s11, s5
	s_waitcnt lgkmcnt(0)
	global_store_dword v0, v1, s[4:5]
.LBB0_5:
	s_or_b64 exec, exec, s[0:1]
	s_waitcnt vmcnt(0) lgkmcnt(0)
	s_barrier
	s_and_saveexec_b64 s[0:1], vcc
	s_cbranch_execz .LBB0_7
; %bb.6:
	s_memtime s[4:5]
	s_add_i32 s0, s8, s6
	s_mov_b32 s1, 0
	s_lshl_b64 s[0:1], s[0:1], 3
	s_add_u32 s0, s2, s0
	s_waitcnt lgkmcnt(0)
	v_mov_b32_e32 v0, s4
	s_addc_u32 s1, s3, s1
	v_mov_b32_e32 v2, 0
	v_mov_b32_e32 v1, s5
	global_store_dwordx2 v2, v[0:1], s[0:1]
.LBB0_7:
	s_endpgm
.LBB0_8:                                ;   in Loop: Header=BB0_9 Depth=1
	s_or_b64 exec, exec, s[4:5]
	s_lshr_b32 s0, s7, 1
	s_cmp_lt_u32 s7, 2
	s_mov_b32 s7, s0
	s_cbranch_scc1 .LBB0_3
.LBB0_9:                                ; =>This Inner Loop Header: Depth=1
	v_cmp_gt_u32_e64 s[0:1], s7, v0
	s_waitcnt lgkmcnt(0)
	s_barrier
	s_and_saveexec_b64 s[4:5], s[0:1]
	s_cbranch_execz .LBB0_8
; %bb.10:                               ;   in Loop: Header=BB0_9 Depth=1
	v_lshl_add_u32 v2, s7, 2, v1
	ds_read_b32 v3, v1
	ds_read_b32 v2, v2
	s_waitcnt lgkmcnt(0)
	v_cmp_lt_f32_e64 s[0:1], v2, v3
	s_and_b64 exec, exec, s[0:1]
	s_cbranch_execz .LBB0_8
; %bb.11:                               ;   in Loop: Header=BB0_9 Depth=1
	ds_write_b32 v1, v2
	s_branch .LBB0_8
	.section	.rodata,"a",@progbits
	.p2align	6, 0x0
	.amdhsa_kernel _ZL14timedReductionPKfPfPl
		.amdhsa_group_segment_fixed_size 0
		.amdhsa_private_segment_fixed_size 0
		.amdhsa_kernarg_size 280
		.amdhsa_user_sgpr_count 6
		.amdhsa_user_sgpr_private_segment_buffer 1
		.amdhsa_user_sgpr_dispatch_ptr 0
		.amdhsa_user_sgpr_queue_ptr 0
		.amdhsa_user_sgpr_kernarg_segment_ptr 1
		.amdhsa_user_sgpr_dispatch_id 0
		.amdhsa_user_sgpr_flat_scratch_init 0
		.amdhsa_user_sgpr_private_segment_size 0
		.amdhsa_uses_dynamic_stack 0
		.amdhsa_system_sgpr_private_segment_wavefront_offset 0
		.amdhsa_system_sgpr_workgroup_id_x 1
		.amdhsa_system_sgpr_workgroup_id_y 0
		.amdhsa_system_sgpr_workgroup_id_z 0
		.amdhsa_system_sgpr_workgroup_info 0
		.amdhsa_system_vgpr_workitem_id 0
		.amdhsa_next_free_vgpr 6
		.amdhsa_next_free_sgpr 16
		.amdhsa_reserve_vcc 1
		.amdhsa_reserve_flat_scratch 0
		.amdhsa_float_round_mode_32 0
		.amdhsa_float_round_mode_16_64 0
		.amdhsa_float_denorm_mode_32 3
		.amdhsa_float_denorm_mode_16_64 3
		.amdhsa_dx10_clamp 1
		.amdhsa_ieee_mode 1
		.amdhsa_fp16_overflow 0
		.amdhsa_exception_fp_ieee_invalid_op 0
		.amdhsa_exception_fp_denorm_src 0
		.amdhsa_exception_fp_ieee_div_zero 0
		.amdhsa_exception_fp_ieee_overflow 0
		.amdhsa_exception_fp_ieee_underflow 0
		.amdhsa_exception_fp_ieee_inexact 0
		.amdhsa_exception_int_div_zero 0
	.end_amdhsa_kernel
	.section	.text._ZL14timedReductionPKfPfPl,"axG",@progbits,_ZL14timedReductionPKfPfPl,comdat
.Lfunc_end0:
	.size	_ZL14timedReductionPKfPfPl, .Lfunc_end0-_ZL14timedReductionPKfPfPl
                                        ; -- End function
	.set _ZL14timedReductionPKfPfPl.num_vgpr, 6
	.set _ZL14timedReductionPKfPfPl.num_agpr, 0
	.set _ZL14timedReductionPKfPfPl.numbered_sgpr, 16
	.set _ZL14timedReductionPKfPfPl.num_named_barrier, 0
	.set _ZL14timedReductionPKfPfPl.private_seg_size, 0
	.set _ZL14timedReductionPKfPfPl.uses_vcc, 1
	.set _ZL14timedReductionPKfPfPl.uses_flat_scratch, 0
	.set _ZL14timedReductionPKfPfPl.has_dyn_sized_stack, 0
	.set _ZL14timedReductionPKfPfPl.has_recursion, 0
	.set _ZL14timedReductionPKfPfPl.has_indirect_call, 0
	.section	.AMDGPU.csdata,"",@progbits
; Kernel info:
; codeLenInByte = 432
; TotalNumSgprs: 20
; NumVgprs: 6
; ScratchSize: 0
; MemoryBound: 0
; FloatMode: 240
; IeeeMode: 1
; LDSByteSize: 0 bytes/workgroup (compile time only)
; SGPRBlocks: 2
; VGPRBlocks: 1
; NumSGPRsForWavesPerEU: 20
; NumVGPRsForWavesPerEU: 6
; Occupancy: 10
; WaveLimiterHint : 0
; COMPUTE_PGM_RSRC2:SCRATCH_EN: 0
; COMPUTE_PGM_RSRC2:USER_SGPR: 6
; COMPUTE_PGM_RSRC2:TRAP_HANDLER: 0
; COMPUTE_PGM_RSRC2:TGID_X_EN: 1
; COMPUTE_PGM_RSRC2:TGID_Y_EN: 0
; COMPUTE_PGM_RSRC2:TGID_Z_EN: 0
; COMPUTE_PGM_RSRC2:TIDIG_COMP_CNT: 0
	.section	.AMDGPU.gpr_maximums,"",@progbits
	.set amdgpu.max_num_vgpr, 0
	.set amdgpu.max_num_agpr, 0
	.set amdgpu.max_num_sgpr, 0
	.section	.AMDGPU.csdata,"",@progbits
	.type	__hip_cuid_9847e89e4e6d7074,@object ; @__hip_cuid_9847e89e4e6d7074
	.section	.bss,"aw",@nobits
	.globl	__hip_cuid_9847e89e4e6d7074
__hip_cuid_9847e89e4e6d7074:
	.byte	0                               ; 0x0
	.size	__hip_cuid_9847e89e4e6d7074, 1

	.ident	"AMD clang version 22.0.0git (https://github.com/RadeonOpenCompute/llvm-project roc-7.2.4 26084 f58b06dce1f9c15707c5f808fd002e18c2accf7e)"
	.section	".note.GNU-stack","",@progbits
	.addrsig
	.addrsig_sym __hip_cuid_9847e89e4e6d7074
	.amdgpu_metadata
---
amdhsa.kernels:
  - .args:
      - .address_space:  global
        .offset:         0
        .size:           8
        .value_kind:     global_buffer
      - .address_space:  global
        .offset:         8
        .size:           8
        .value_kind:     global_buffer
      - .address_space:  global
        .offset:         16
        .size:           8
        .value_kind:     global_buffer
      - .offset:         24
        .size:           4
        .value_kind:     hidden_block_count_x
      - .offset:         28
        .size:           4
        .value_kind:     hidden_block_count_y
      - .offset:         32
        .size:           4
        .value_kind:     hidden_block_count_z
      - .offset:         36
        .size:           2
        .value_kind:     hidden_group_size_x
      - .offset:         38
        .size:           2
        .value_kind:     hidden_group_size_y
      - .offset:         40
        .size:           2
        .value_kind:     hidden_group_size_z
      - .offset:         42
        .size:           2
        .value_kind:     hidden_remainder_x
      - .offset:         44
        .size:           2
        .value_kind:     hidden_remainder_y
      - .offset:         46
        .size:           2
        .value_kind:     hidden_remainder_z
      - .offset:         64
        .size:           8
        .value_kind:     hidden_global_offset_x
      - .offset:         72
        .size:           8
        .value_kind:     hidden_global_offset_y
      - .offset:         80
        .size:           8
        .value_kind:     hidden_global_offset_z
      - .offset:         88
        .size:           2
        .value_kind:     hidden_grid_dims
      - .offset:         144
        .size:           4
        .value_kind:     hidden_dynamic_lds_size
    .group_segment_fixed_size: 0
    .kernarg_segment_align: 8
    .kernarg_segment_size: 280
    .language:       OpenCL C
    .language_version:
      - 2
      - 0
    .max_flat_workgroup_size: 1024
    .name:           _ZL14timedReductionPKfPfPl
    .private_segment_fixed_size: 0
    .sgpr_count:     20
    .sgpr_spill_count: 0
    .symbol:         _ZL14timedReductionPKfPfPl.kd
    .uniform_work_group_size: 1
    .uses_dynamic_stack: false
    .vgpr_count:     6
    .vgpr_spill_count: 0
    .wavefront_size: 64
amdhsa.target:   amdgcn-amd-amdhsa--gfx906
amdhsa.version:
  - 1
  - 2
...

	.end_amdgpu_metadata
